;; amdgpu-corpus repo=ROCm/rocFFT kind=compiled arch=gfx950 opt=O3
	.text
	.amdgcn_target "amdgcn-amd-amdhsa--gfx950"
	.amdhsa_code_object_version 6
	.protected	bluestein_single_fwd_len245_dim1_dp_op_CI_CI ; -- Begin function bluestein_single_fwd_len245_dim1_dp_op_CI_CI
	.globl	bluestein_single_fwd_len245_dim1_dp_op_CI_CI
	.p2align	8
	.type	bluestein_single_fwd_len245_dim1_dp_op_CI_CI,@function
bluestein_single_fwd_len245_dim1_dp_op_CI_CI: ; @bluestein_single_fwd_len245_dim1_dp_op_CI_CI
; %bb.0:
	s_load_dwordx4 s[16:19], s[0:1], 0x28
	v_mul_u32_u24_e32 v1, 0x751, v0
	v_lshrrev_b32_e32 v2, 16, v1
	v_mad_u64_u32 v[124:125], s[2:3], s2, 7, v[2:3]
	v_mov_b32_e32 v101, 0
	v_mov_b32_e32 v125, v101
	s_waitcnt lgkmcnt(0)
	v_cmp_gt_u64_e32 vcc, s[16:17], v[124:125]
	s_and_saveexec_b64 s[2:3], vcc
	s_cbranch_execz .LBB0_10
; %bb.1:
	s_load_dwordx4 s[8:11], s[0:1], 0x18
	s_load_dwordx4 s[4:7], s[0:1], 0x0
	v_mul_lo_u16_e32 v1, 35, v2
	v_sub_u16_e32 v125, v0, v1
	v_mov_b32_e32 v4, s18
	s_waitcnt lgkmcnt(0)
	s_load_dwordx4 s[12:15], s[8:9], 0x0
	v_mov_b32_e32 v5, s19
	v_mov_b32_e32 v14, 0x230
	v_lshlrev_b32_e32 v100, 4, v125
	global_load_dwordx4 v[24:27], v100, s[4:5]
	s_waitcnt lgkmcnt(0)
	v_mad_u64_u32 v[0:1], s[2:3], s14, v124, 0
	v_mov_b32_e32 v2, v1
	v_mad_u64_u32 v[2:3], s[2:3], s15, v124, v[2:3]
	v_mov_b32_e32 v1, v2
	;; [unrolled: 2-line block ×4, first 2 shown]
	v_lshl_add_u64 v[0:1], v[0:1], 4, v[4:5]
	v_lshl_add_u64 v[0:1], v[2:3], 4, v[0:1]
	global_load_dwordx4 v[28:31], v[0:1], off
	v_mad_u64_u32 v[0:1], s[2:3], s12, v14, v[0:1]
	s_mul_i32 s8, s13, 0x230
	v_add_u32_e32 v1, s8, v1
	global_load_dwordx4 v[16:19], v100, s[4:5] offset:560
	global_load_dwordx4 v[32:35], v[0:1], off
	v_mad_u64_u32 v[4:5], s[2:3], s12, v14, v[0:1]
	v_add_u32_e32 v5, s8, v5
	global_load_dwordx4 v[36:39], v[4:5], off
	global_load_dwordx4 v[0:3], v100, s[4:5] offset:1120
	v_mad_u64_u32 v[4:5], s[2:3], s12, v14, v[4:5]
	v_add_u32_e32 v5, s8, v5
	global_load_dwordx4 v[20:23], v100, s[4:5] offset:1680
	global_load_dwordx4 v[40:43], v[4:5], off
	v_mad_u64_u32 v[8:9], s[2:3], s12, v14, v[4:5]
	v_add_u32_e32 v9, s8, v9
	global_load_dwordx4 v[44:47], v[8:9], off
	global_load_dwordx4 v[4:7], v100, s[4:5] offset:2240
	v_mad_u64_u32 v[12:13], s[2:3], s12, v14, v[8:9]
	v_add_u32_e32 v13, s8, v13
	global_load_dwordx4 v[48:51], v[12:13], off
	global_load_dwordx4 v[8:11], v100, s[4:5] offset:2800
	v_mad_u64_u32 v[56:57], s[2:3], s12, v14, v[12:13]
	v_add_u32_e32 v57, s8, v57
	global_load_dwordx4 v[12:15], v100, s[4:5] offset:3360
	global_load_dwordx4 v[52:55], v[56:57], off
	s_load_dwordx2 s[8:9], s[0:1], 0x38
	s_mov_b32 s0, 0x24924925
	v_mul_hi_u32 v56, v124, s0
	v_sub_u32_e32 v57, v124, v56
	v_lshrrev_b32_e32 v57, 1, v57
	v_add_u32_e32 v56, v57, v56
	v_lshrrev_b32_e32 v56, 2, v56
	v_mul_lo_u32 v56, v56, 7
	v_sub_u32_e32 v56, v124, v56
	v_mul_u32_u24_e32 v56, 0xf5, v56
	v_lshlrev_b32_e32 v127, 4, v56
	v_add_u32_e32 v126, v100, v127
	s_load_dwordx4 s[0:3], s[10:11], 0x0
	s_mov_b32 s10, 0x37e14327
	s_mov_b32 s11, 0x3fe948f6
	;; [unrolled: 1-line block ×6, first 2 shown]
	v_cmp_gt_u16_e32 vcc, 14, v125
                                        ; implicit-def: $vgpr88_vgpr89
                                        ; implicit-def: $vgpr92_vgpr93
                                        ; implicit-def: $vgpr96_vgpr97
	s_waitcnt vmcnt(12)
	v_mul_f64 v[56:57], v[30:31], v[26:27]
	v_mul_f64 v[58:59], v[28:29], v[26:27]
	v_fmac_f64_e32 v[56:57], v[28:29], v[24:25]
	v_fma_f64 v[58:59], v[30:31], v[24:25], -v[58:59]
	ds_write_b128 v126, v[56:59]
	s_waitcnt vmcnt(10)
	v_mul_f64 v[28:29], v[34:35], v[18:19]
	v_mul_f64 v[30:31], v[32:33], v[18:19]
	v_fmac_f64_e32 v[28:29], v[32:33], v[16:17]
	v_fma_f64 v[30:31], v[34:35], v[16:17], -v[30:31]
	ds_write_b128 v126, v[28:31] offset:560
	s_waitcnt vmcnt(8)
	v_mul_f64 v[28:29], v[38:39], v[2:3]
	v_mul_f64 v[30:31], v[36:37], v[2:3]
	v_fmac_f64_e32 v[28:29], v[36:37], v[0:1]
	v_fma_f64 v[30:31], v[38:39], v[0:1], -v[30:31]
	ds_write_b128 v126, v[28:31] offset:1120
	;; [unrolled: 6-line block ×6, first 2 shown]
	s_waitcnt lgkmcnt(0)
	s_barrier
	ds_read_b128 v[28:31], v126
	ds_read_b128 v[32:35], v126 offset:560
	ds_read_b128 v[36:39], v126 offset:3360
	;; [unrolled: 1-line block ×6, first 2 shown]
	s_waitcnt lgkmcnt(4)
	v_add_f64 v[56:57], v[32:33], v[36:37]
	v_add_f64 v[32:33], v[32:33], -v[36:37]
	v_add_f64 v[58:59], v[34:35], v[38:39]
	v_add_f64 v[34:35], v[34:35], -v[38:39]
	s_waitcnt lgkmcnt(0)
	v_add_f64 v[36:37], v[40:41], v[52:53]
	v_add_f64 v[38:39], v[42:43], v[54:55]
	v_add_f64 v[40:41], v[40:41], -v[52:53]
	v_add_f64 v[52:53], v[44:45], v[48:49]
	v_add_f64 v[44:45], v[48:49], -v[44:45]
	;; [unrolled: 2-line block ×4, first 2 shown]
	v_add_f64 v[50:51], v[38:39], v[58:59]
	v_add_f64 v[48:49], v[52:53], v[48:49]
	v_add_f64 v[60:61], v[36:37], -v[56:57]
	v_add_f64 v[62:63], v[38:39], -v[58:59]
	;; [unrolled: 1-line block ×4, first 2 shown]
	v_add_f64 v[50:51], v[54:55], v[50:51]
	v_add_f64 v[28:29], v[28:29], v[48:49]
	v_add_f64 v[36:37], v[52:53], -v[36:37]
	v_add_f64 v[38:39], v[54:55], -v[38:39]
	v_add_f64 v[30:31], v[30:31], v[50:51]
	v_mul_f64 v[52:53], v[56:57], s[10:11]
	v_mul_f64 v[54:55], v[58:59], s[10:11]
	s_mov_b32 s10, 0x36b3c0b5
	v_mov_b64_e32 v[72:73], v[28:29]
	s_mov_b32 s11, 0x3fac98ee
	v_fmac_f64_e32 v[72:73], s[14:15], v[48:49]
	v_mov_b64_e32 v[48:49], v[30:31]
	v_add_f64 v[64:65], v[44:45], v[40:41]
	v_add_f64 v[66:67], v[46:47], v[42:43]
	v_add_f64 v[68:69], v[44:45], -v[40:41]
	v_add_f64 v[70:71], v[46:47], -v[42:43]
	v_mul_f64 v[56:57], v[36:37], s[10:11]
	v_mul_f64 v[58:59], v[38:39], s[10:11]
	v_fmac_f64_e32 v[48:49], s[14:15], v[50:51]
	s_mov_b32 s15, 0x3fe77f67
	s_mov_b32 s14, 0x5476071b
	v_add_f64 v[44:45], v[32:33], -v[44:45]
	v_add_f64 v[46:47], v[34:35], -v[46:47]
	;; [unrolled: 1-line block ×4, first 2 shown]
	v_add_f64 v[32:33], v[64:65], v[32:33]
	v_add_f64 v[34:35], v[66:67], v[34:35]
	v_mul_f64 v[64:65], v[68:69], s[12:13]
	v_mul_f64 v[66:67], v[70:71], s[12:13]
	s_mov_b32 s12, 0x429ad128
	v_fma_f64 v[50:51], v[60:61], s[14:15], -v[56:57]
	v_fma_f64 v[56:57], v[62:63], s[14:15], -v[58:59]
	s_mov_b32 s15, 0xbfe77f67
	s_mov_b32 s13, 0x3febfeb5
	v_fma_f64 v[36:37], s[10:11], v[36:37], v[52:53]
	v_fma_f64 v[58:59], v[62:63], s[14:15], -v[54:55]
	v_fmac_f64_e32 v[54:55], s[10:11], v[38:39]
	s_mov_b32 s11, 0x3fd5d0dc
	s_mov_b32 s10, 0xb247c609
	v_mul_f64 v[68:69], v[40:41], s[12:13]
	v_mul_f64 v[70:71], v[42:43], s[12:13]
	v_fma_f64 v[74:75], s[10:11], v[44:45], v[64:65]
	v_fma_f64 v[62:63], v[42:43], s[12:13], -v[66:67]
	v_fmac_f64_e32 v[66:67], s[10:11], v[46:47]
	s_mov_b32 s11, 0xbfd5d0dc
	v_fma_f64 v[52:53], v[60:61], s[14:15], -v[52:53]
	v_fma_f64 v[60:61], v[40:41], s[12:13], -v[64:65]
	v_fma_f64 v[64:65], v[44:45], s[10:11], -v[68:69]
	v_fma_f64 v[68:69], v[46:47], s[10:11], -v[70:71]
	s_mov_b32 s10, 0x37c3f68c
	s_mov_b32 s11, 0x3fdc38aa
	v_add_f64 v[54:55], v[54:55], v[48:49]
	v_add_f64 v[44:45], v[50:51], v[72:73]
	v_add_f64 v[46:47], v[56:57], v[48:49]
	v_add_f64 v[48:49], v[58:59], v[48:49]
	v_fmac_f64_e32 v[62:63], s[10:11], v[34:35]
	v_fmac_f64_e32 v[64:65], s[10:11], v[32:33]
	v_add_f64 v[38:39], v[48:49], -v[64:65]
	v_add_f64 v[40:41], v[44:45], -v[62:63]
	v_add_f64 v[44:45], v[44:45], v[62:63]
	v_add_f64 v[62:63], v[64:65], v[48:49]
	v_mul_lo_u16_e32 v48, 7, v125
	v_add_f64 v[70:71], v[36:37], v[72:73]
	v_add_f64 v[50:51], v[52:53], v[72:73]
	v_fmac_f64_e32 v[74:75], s[10:11], v[32:33]
	v_fmac_f64_e32 v[66:67], s[10:11], v[34:35]
	;; [unrolled: 1-line block ×4, first 2 shown]
	v_lshl_add_u32 v112, v48, 4, v127
	v_add_f64 v[32:33], v[70:71], v[66:67]
	v_add_f64 v[34:35], v[54:55], -v[74:75]
	v_add_f64 v[36:37], v[50:51], v[68:69]
	v_add_f64 v[42:43], v[60:61], v[46:47]
	v_add_f64 v[46:47], v[46:47], -v[60:61]
	v_add_f64 v[60:61], v[50:51], -v[68:69]
	;; [unrolled: 1-line block ×3, first 2 shown]
	v_add_f64 v[70:71], v[74:75], v[54:55]
	s_barrier
	ds_write_b128 v112, v[28:31]
	ds_write_b128 v112, v[32:35] offset:16
	ds_write_b128 v112, v[36:39] offset:32
	;; [unrolled: 1-line block ×6, first 2 shown]
	s_waitcnt lgkmcnt(0)
	s_barrier
	ds_read_b128 v[64:67], v126
	ds_read_b128 v[84:87], v126 offset:784
	ds_read_b128 v[80:83], v126 offset:1568
	;; [unrolled: 1-line block ×4, first 2 shown]
	s_and_saveexec_b64 s[10:11], vcc
	s_cbranch_execz .LBB0_3
; %bb.2:
	ds_read_b128 v[60:63], v126 offset:560
	ds_read_b128 v[68:71], v126 offset:1344
	;; [unrolled: 1-line block ×5, first 2 shown]
.LBB0_3:
	s_or_b64 exec, exec, s[10:11]
	v_mov_b32_e32 v28, 37
	v_mul_lo_u16_sdwa v29, v125, v28 dst_sel:DWORD dst_unused:UNUSED_PAD src0_sel:BYTE_0 src1_sel:DWORD
	v_sub_u16_sdwa v30, v125, v29 dst_sel:DWORD dst_unused:UNUSED_PAD src0_sel:DWORD src1_sel:BYTE_1
	v_lshrrev_b16_e32 v30, 1, v30
	v_and_b32_e32 v30, 0x7f, v30
	v_add_u16_sdwa v29, v30, v29 dst_sel:DWORD dst_unused:UNUSED_PAD src0_sel:DWORD src1_sel:BYTE_1
	v_lshrrev_b16_e32 v113, 2, v29
	v_mul_lo_u16_e32 v29, 7, v113
	v_sub_u16_e32 v142, v125, v29
	v_mov_b32_e32 v29, 6
	v_lshlrev_b32_sdwa v30, v29, v142 dst_sel:DWORD dst_unused:UNUSED_PAD src0_sel:DWORD src1_sel:BYTE_0
	global_load_dwordx4 v[48:51], v30, s[6:7] offset:16
	global_load_dwordx4 v[56:59], v30, s[6:7]
	global_load_dwordx4 v[44:47], v30, s[6:7] offset:48
	global_load_dwordx4 v[52:55], v30, s[6:7] offset:32
	v_add_u16_e32 v30, 35, v125
	v_mul_lo_u16_sdwa v28, v30, v28 dst_sel:DWORD dst_unused:UNUSED_PAD src0_sel:BYTE_0 src1_sel:DWORD
	v_sub_u16_sdwa v31, v30, v28 dst_sel:DWORD dst_unused:UNUSED_PAD src0_sel:DWORD src1_sel:BYTE_1
	v_lshrrev_b16_e32 v31, 1, v31
	v_and_b32_e32 v31, 0x7f, v31
	v_add_u16_sdwa v28, v31, v28 dst_sel:DWORD dst_unused:UNUSED_PAD src0_sel:DWORD src1_sel:BYTE_1
	v_lshrrev_b16_e32 v128, 2, v28
	v_mul_lo_u16_e32 v28, 7, v128
	v_sub_u16_e32 v129, v30, v28
	v_lshlrev_b32_sdwa v102, v29, v129 dst_sel:DWORD dst_unused:UNUSED_PAD src0_sel:DWORD src1_sel:BYTE_0
	global_load_dwordx4 v[32:35], v102, s[6:7]
	global_load_dwordx4 v[40:43], v102, s[6:7] offset:16
	global_load_dwordx4 v[36:39], v102, s[6:7] offset:32
	;; [unrolled: 1-line block ×3, first 2 shown]
	s_mov_b32 s10, 0x134454ff
	s_mov_b32 s11, 0x3fee6f0e
	;; [unrolled: 1-line block ×10, first 2 shown]
	s_waitcnt lgkmcnt(0)
	s_barrier
	s_waitcnt vmcnt(7)
	v_mul_f64 v[114:115], v[82:83], v[50:51]
	s_waitcnt vmcnt(6)
	v_mul_f64 v[120:121], v[84:85], v[58:59]
	v_mul_f64 v[110:111], v[86:87], v[58:59]
	s_waitcnt vmcnt(4)
	v_mul_f64 v[116:117], v[78:79], v[54:55]
	v_mul_f64 v[122:123], v[80:81], v[50:51]
	;; [unrolled: 1-line block ×5, first 2 shown]
	v_fmac_f64_e32 v[120:121], v[86:87], v[56:57]
	v_fma_f64 v[86:87], v[80:81], v[48:49], -v[114:115]
	v_fma_f64 v[76:77], v[76:77], v[52:53], -v[116:117]
	s_waitcnt vmcnt(3)
	v_mul_f64 v[102:103], v[68:69], v[34:35]
	s_waitcnt vmcnt(2)
	v_mul_f64 v[136:137], v[90:91], v[42:43]
	v_mul_f64 v[104:105], v[88:89], v[42:43]
	s_waitcnt vmcnt(0)
	v_mul_f64 v[108:109], v[96:97], v[30:31]
	v_fma_f64 v[84:85], v[84:85], v[56:57], -v[110:111]
	v_fmac_f64_e32 v[122:123], v[82:83], v[48:49]
	v_fmac_f64_e32 v[130:131], v[78:79], v[52:53]
	v_fma_f64 v[78:79], v[72:73], v[44:45], -v[118:119]
	v_fmac_f64_e32 v[132:133], v[74:75], v[44:45]
	v_add_f64 v[82:83], v[86:87], v[76:77]
	v_mul_f64 v[134:135], v[70:71], v[34:35]
	v_mul_f64 v[140:141], v[98:99], v[30:31]
	v_fmac_f64_e32 v[102:103], v[70:71], v[32:33]
	v_fma_f64 v[70:71], v[88:89], v[40:41], -v[136:137]
	v_fmac_f64_e32 v[104:105], v[90:91], v[40:41]
	v_fmac_f64_e32 v[108:109], v[98:99], v[28:29]
	v_add_f64 v[88:89], v[84:85], -v[86:87]
	v_add_f64 v[90:91], v[78:79], -v[76:77]
	;; [unrolled: 1-line block ×3, first 2 shown]
	v_fma_f64 v[114:115], -0.5, v[82:83], v[64:65]
	v_add_f64 v[80:81], v[64:65], v[84:85]
	v_add_f64 v[110:111], v[122:123], -v[130:131]
	v_add_f64 v[90:91], v[88:89], v[90:91]
	v_fma_f64 v[88:89], s[10:11], v[98:99], v[114:115]
	v_fmac_f64_e32 v[114:115], s[14:15], v[98:99]
	v_add_f64 v[80:81], v[80:81], v[86:87]
	v_fmac_f64_e32 v[88:89], s[12:13], v[110:111]
	v_fmac_f64_e32 v[114:115], s[16:17], v[110:111]
	v_mul_f64 v[138:139], v[94:95], v[38:39]
	v_fmac_f64_e32 v[88:89], s[18:19], v[90:91]
	v_fmac_f64_e32 v[114:115], s[18:19], v[90:91]
	v_add_f64 v[80:81], v[80:81], v[76:77]
	v_add_f64 v[90:91], v[122:123], v[130:131]
	v_mul_f64 v[106:107], v[92:93], v[38:39]
	v_fma_f64 v[72:73], v[92:93], v[36:37], -v[138:139]
	v_fma_f64 v[74:75], v[96:97], v[28:29], -v[140:141]
	v_add_f64 v[92:93], v[84:85], v[78:79]
	v_add_f64 v[96:97], v[76:77], -v[78:79]
	v_add_f64 v[80:81], v[80:81], v[78:79]
	v_fma_f64 v[116:117], -0.5, v[90:91], v[66:67]
	v_add_f64 v[78:79], v[84:85], -v[78:79]
	v_fmac_f64_e32 v[106:107], v[94:95], v[36:37]
	v_add_f64 v[94:95], v[86:87], -v[84:85]
	v_fmac_f64_e32 v[64:65], -0.5, v[92:93]
	v_add_f64 v[76:77], v[86:87], -v[76:77]
	v_add_f64 v[84:85], v[120:121], -v[122:123]
	v_add_f64 v[86:87], v[132:133], -v[130:131]
	v_fma_f64 v[90:91], s[14:15], v[78:79], v[116:117]
	v_fmac_f64_e32 v[116:117], s[10:11], v[78:79]
	v_fma_f64 v[118:119], s[14:15], v[110:111], v[64:65]
	v_fmac_f64_e32 v[64:65], s[10:11], v[110:111]
	v_add_f64 v[84:85], v[84:85], v[86:87]
	v_fmac_f64_e32 v[90:91], s[16:17], v[76:77]
	v_fmac_f64_e32 v[116:117], s[12:13], v[76:77]
	v_add_f64 v[82:83], v[94:95], v[96:97]
	v_fmac_f64_e32 v[118:119], s[12:13], v[98:99]
	v_fmac_f64_e32 v[64:65], s[16:17], v[98:99]
	;; [unrolled: 1-line block ×4, first 2 shown]
	v_add_f64 v[84:85], v[120:121], v[132:133]
	v_fma_f64 v[68:69], v[68:69], v[32:33], -v[134:135]
	v_fmac_f64_e32 v[118:119], s[18:19], v[82:83]
	v_fmac_f64_e32 v[64:65], s[18:19], v[82:83]
	v_add_f64 v[82:83], v[66:67], v[120:121]
	v_fmac_f64_e32 v[66:67], -0.5, v[84:85]
	v_add_f64 v[84:85], v[122:123], -v[120:121]
	v_add_f64 v[86:87], v[130:131], -v[132:133]
	v_add_f64 v[84:85], v[84:85], v[86:87]
	v_add_f64 v[86:87], v[68:69], -v[70:71]
	v_add_f64 v[92:93], v[74:75], -v[72:73]
	v_add_f64 v[82:83], v[82:83], v[122:123]
	v_add_f64 v[86:87], v[86:87], v[92:93]
	v_mul_u32_u24_e32 v92, 35, v113
	v_add_f64 v[82:83], v[82:83], v[130:131]
	v_add_u32_sdwa v92, v92, v142 dst_sel:DWORD dst_unused:UNUSED_PAD src0_sel:DWORD src1_sel:BYTE_0
	v_add_f64 v[82:83], v[82:83], v[132:133]
	v_fma_f64 v[120:121], s[10:11], v[76:77], v[66:67]
	v_fmac_f64_e32 v[66:67], s[14:15], v[76:77]
	v_lshl_add_u32 v130, v92, 4, v127
	v_fmac_f64_e32 v[120:121], s[16:17], v[78:79]
	v_fmac_f64_e32 v[66:67], s[12:13], v[78:79]
	ds_write_b128 v130, v[80:83]
	v_add_f64 v[82:83], v[68:69], v[74:75]
	v_fmac_f64_e32 v[120:121], s[18:19], v[84:85]
	v_fmac_f64_e32 v[66:67], s[18:19], v[84:85]
	v_add_f64 v[84:85], v[104:105], -v[106:107]
	ds_write_b128 v130, v[88:91] offset:112
	v_add_f64 v[88:89], v[70:71], -v[68:69]
	v_add_f64 v[90:91], v[72:73], -v[74:75]
	v_fma_f64 v[92:93], -0.5, v[82:83], v[60:61]
	v_add_f64 v[78:79], v[102:103], -v[108:109]
	v_add_f64 v[90:91], v[88:89], v[90:91]
	v_fma_f64 v[88:89], s[14:15], v[84:85], v[92:93]
	v_fmac_f64_e32 v[92:93], s[10:11], v[84:85]
	ds_write_b128 v130, v[64:67] offset:336
	v_add_f64 v[64:65], v[102:103], -v[104:105]
	v_add_f64 v[66:67], v[108:109], -v[106:107]
	v_add_f64 v[76:77], v[70:71], v[72:73]
	v_fmac_f64_e32 v[88:89], s[12:13], v[78:79]
	v_fmac_f64_e32 v[92:93], s[16:17], v[78:79]
	v_add_f64 v[82:83], v[104:105], v[106:107]
	v_add_f64 v[64:65], v[64:65], v[66:67]
	;; [unrolled: 1-line block ×3, first 2 shown]
	v_fma_f64 v[76:77], -0.5, v[76:77], v[60:61]
	v_fmac_f64_e32 v[88:89], s[18:19], v[90:91]
	v_fmac_f64_e32 v[92:93], s[18:19], v[90:91]
	v_fma_f64 v[98:99], -0.5, v[82:83], v[62:63]
	v_fma_f64 v[94:95], -0.5, v[66:67], v[62:63]
	v_add_f64 v[66:67], v[68:69], -v[74:75]
	v_add_f64 v[82:83], v[104:105], -v[102:103]
	v_add_f64 v[90:91], v[106:107], -v[108:109]
	v_add_f64 v[110:111], v[70:71], -v[72:73]
	v_fma_f64 v[80:81], s[14:15], v[78:79], v[76:77]
	ds_write_b128 v130, v[114:117] offset:448
	v_add_f64 v[114:115], v[82:83], v[90:91]
	v_fma_f64 v[82:83], s[10:11], v[66:67], v[98:99]
	v_fma_f64 v[90:91], s[10:11], v[110:111], v[94:95]
	v_fmac_f64_e32 v[94:95], s[14:15], v[110:111]
	v_fmac_f64_e32 v[80:81], s[16:17], v[84:85]
	;; [unrolled: 1-line block ×5, first 2 shown]
	v_lshl_add_u64 v[96:97], s[4:5], 0, v[100:101]
	v_fmac_f64_e32 v[80:81], s[18:19], v[86:87]
	v_fmac_f64_e32 v[82:83], s[18:19], v[64:65]
	v_fmac_f64_e32 v[90:91], s[18:19], v[114:115]
	v_fmac_f64_e32 v[94:95], s[18:19], v[114:115]
	ds_write_b128 v130, v[118:121] offset:224
	s_and_saveexec_b64 s[14:15], vcc
	s_cbranch_execz .LBB0_5
; %bb.4:
	v_add_f64 v[62:63], v[62:63], v[102:103]
	v_add_f64 v[60:61], v[60:61], v[68:69]
	v_mul_f64 v[66:67], v[66:67], s[10:11]
	v_add_f64 v[62:63], v[62:63], v[104:105]
	v_add_f64 v[60:61], v[60:61], v[70:71]
	v_mul_f64 v[114:115], v[78:79], s[10:11]
	v_mul_f64 v[78:79], v[110:111], s[12:13]
	v_add_f64 v[66:67], v[98:99], -v[66:67]
	v_add_f64 v[62:63], v[62:63], v[106:107]
	v_add_f64 v[60:61], v[60:61], v[72:73]
	v_add_f64 v[66:67], v[66:67], -v[78:79]
	v_add_f64 v[78:79], v[62:63], v[108:109]
	v_add_f64 v[62:63], v[76:77], v[114:115]
	;; [unrolled: 1-line block ×3, first 2 shown]
	v_mul_u32_u24_e32 v60, 35, v128
	v_mul_f64 v[84:85], v[84:85], s[12:13]
	v_add_u32_sdwa v60, v60, v129 dst_sel:DWORD dst_unused:UNUSED_PAD src0_sel:DWORD src1_sel:BYTE_0
	v_mul_f64 v[86:87], v[86:87], s[18:19]
	v_mul_f64 v[64:65], v[64:65], s[18:19]
	v_add_f64 v[62:63], v[84:85], v[62:63]
	v_lshl_add_u32 v60, v60, 4, v127
	v_add_f64 v[64:65], v[64:65], v[66:67]
	v_add_f64 v[62:63], v[86:87], v[62:63]
	ds_write_b128 v60, v[76:79]
	ds_write_b128 v60, v[62:65] offset:112
	ds_write_b128 v60, v[88:91] offset:224
	;; [unrolled: 1-line block ×4, first 2 shown]
.LBB0_5:
	s_or_b64 exec, exec, s[14:15]
	s_movk_i32 s10, 0x60
	v_mov_b64_e32 v[60:61], s[6:7]
	v_mad_u64_u32 v[98:99], s[6:7], v125, s10, v[60:61]
	s_waitcnt lgkmcnt(0)
	s_barrier
	global_load_dwordx4 v[72:75], v[98:99], off offset:448
	global_load_dwordx4 v[68:71], v[98:99], off offset:464
	;; [unrolled: 1-line block ×6, first 2 shown]
	ds_read_b128 v[102:105], v126
	ds_read_b128 v[106:109], v126 offset:560
	ds_read_b128 v[114:117], v126 offset:1120
	;; [unrolled: 1-line block ×6, first 2 shown]
	s_mov_b32 s10, 0x37e14327
	s_mov_b32 s6, 0x36b3c0b5
	s_mov_b32 s14, 0x429ad128
	s_mov_b32 s16, 0xaaaaaaaa
	s_mov_b32 s11, 0x3fe948f6
	s_mov_b32 s7, 0x3fac98ee
	s_mov_b32 s13, 0xbfe11646
	s_mov_b32 s12, 0xe976ee23
	s_mov_b32 s15, 0xbfebfeb5
	s_mov_b32 s17, 0xbff2aaaa
	s_mov_b32 s18, 0x5476071b
	s_mov_b32 s20, 0xb247c609
	s_mov_b32 s19, 0x3fe77f67
	s_mov_b32 s23, 0xbfe77f67
	s_mov_b32 s22, s18
	s_mov_b32 s21, 0x3fd5d0dc
	s_mov_b32 s29, 0x3febfeb5
	s_mov_b32 s28, s14
	s_mov_b32 s27, 0xbfd5d0dc
	s_mov_b32 s26, s20
	s_mov_b32 s25, 0x3fdc38aa
	s_mov_b32 s24, 0x37c3f68c
	s_add_u32 s4, s4, 0xf50
	s_addc_u32 s5, s5, 0
	s_waitcnt vmcnt(5) lgkmcnt(5)
	v_mul_f64 v[98:99], v[108:109], v[74:75]
	v_mul_f64 v[110:111], v[106:107], v[74:75]
	s_waitcnt vmcnt(4) lgkmcnt(4)
	v_mul_f64 v[122:123], v[116:117], v[70:71]
	v_mul_f64 v[144:145], v[114:115], v[70:71]
	s_waitcnt vmcnt(3) lgkmcnt(3)
	v_mul_f64 v[146:147], v[120:121], v[66:67]
	s_waitcnt vmcnt(1) lgkmcnt(1)
	;; [unrolled: 2-line block ×3, first 2 shown]
	v_mul_f64 v[158:159], v[142:143], v[78:79]
	v_mul_f64 v[148:149], v[118:119], v[66:67]
	v_mul_f64 v[150:151], v[134:135], v[62:63]
	v_mul_f64 v[156:157], v[136:137], v[86:87]
	v_mul_f64 v[160:161], v[140:141], v[78:79]
	v_fma_f64 v[98:99], v[106:107], v[72:73], -v[98:99]
	v_fmac_f64_e32 v[110:111], v[108:109], v[72:73]
	v_fma_f64 v[106:107], v[114:115], v[68:69], -v[122:123]
	v_fmac_f64_e32 v[144:145], v[116:117], v[68:69]
	v_fma_f64 v[108:109], v[118:119], v[64:65], -v[146:147]
	v_fma_f64 v[116:117], v[136:137], v[84:85], -v[154:155]
	;; [unrolled: 1-line block ×3, first 2 shown]
	v_mul_f64 v[152:153], v[132:133], v[62:63]
	v_fmac_f64_e32 v[148:149], v[120:121], v[64:65]
	v_fma_f64 v[114:115], v[132:133], v[60:61], -v[150:151]
	v_fmac_f64_e32 v[156:157], v[138:139], v[84:85]
	v_fmac_f64_e32 v[160:161], v[142:143], v[76:77]
	v_add_f64 v[120:121], v[98:99], v[118:119]
	v_add_f64 v[98:99], v[98:99], -v[118:119]
	v_add_f64 v[118:119], v[106:107], v[116:117]
	v_fmac_f64_e32 v[152:153], v[134:135], v[60:61]
	v_add_f64 v[122:123], v[110:111], v[160:161]
	v_add_f64 v[132:133], v[144:145], v[156:157]
	;; [unrolled: 1-line block ×6, first 2 shown]
	v_add_f64 v[142:143], v[118:119], -v[120:121]
	v_add_f64 v[120:121], v[120:121], -v[134:135]
	;; [unrolled: 1-line block ×3, first 2 shown]
	v_add_f64 v[134:135], v[134:135], v[138:139]
	v_add_f64 v[110:111], v[110:111], -v[160:161]
	v_add_f64 v[106:107], v[106:107], -v[116:117]
	;; [unrolled: 1-line block ×8, first 2 shown]
	v_add_f64 v[136:137], v[136:137], v[140:141]
	v_add_f64 v[102:103], v[102:103], v[134:135]
	;; [unrolled: 1-line block ×4, first 2 shown]
	v_add_f64 v[150:151], v[108:109], -v[106:107]
	v_add_f64 v[152:153], v[114:115], -v[116:117]
	;; [unrolled: 1-line block ×4, first 2 shown]
	v_add_f64 v[104:105], v[104:105], v[136:137]
	v_mov_b64_e32 v[154:155], v[102:103]
	v_add_f64 v[108:109], v[98:99], -v[108:109]
	v_add_f64 v[114:115], v[110:111], -v[114:115]
	v_add_f64 v[98:99], v[146:147], v[98:99]
	v_add_f64 v[110:111], v[148:149], v[110:111]
	v_mul_f64 v[120:121], v[120:121], s[10:11]
	v_mul_f64 v[122:123], v[122:123], s[10:11]
	;; [unrolled: 1-line block ×8, first 2 shown]
	v_fmac_f64_e32 v[154:155], s[16:17], v[134:135]
	v_mov_b64_e32 v[134:135], v[104:105]
	v_fmac_f64_e32 v[134:135], s[16:17], v[136:137]
	v_fma_f64 v[136:137], v[142:143], s[18:19], -v[138:139]
	v_fma_f64 v[138:139], v[144:145], s[18:19], -v[140:141]
	;; [unrolled: 1-line block ×3, first 2 shown]
	v_fmac_f64_e32 v[120:121], s[6:7], v[118:119]
	v_fma_f64 v[118:119], v[144:145], s[22:23], -v[122:123]
	v_fmac_f64_e32 v[122:123], s[6:7], v[132:133]
	v_fma_f64 v[142:143], v[106:107], s[28:29], -v[146:147]
	;; [unrolled: 2-line block ×3, first 2 shown]
	v_fmac_f64_e32 v[148:149], s[20:21], v[114:115]
	v_fmac_f64_e32 v[150:151], s[26:27], v[108:109]
	;; [unrolled: 1-line block ×3, first 2 shown]
	v_add_f64 v[144:145], v[120:121], v[154:155]
	v_add_f64 v[122:123], v[122:123], v[134:135]
	;; [unrolled: 1-line block ×6, first 2 shown]
	v_fmac_f64_e32 v[146:147], s[24:25], v[98:99]
	v_fmac_f64_e32 v[148:149], s[24:25], v[110:111]
	;; [unrolled: 1-line block ×6, first 2 shown]
	v_add_f64 v[106:107], v[148:149], v[144:145]
	v_add_f64 v[108:109], v[122:123], -v[146:147]
	v_add_f64 v[114:115], v[152:153], v[140:141]
	v_add_f64 v[116:117], v[154:155], -v[150:151]
	v_add_f64 v[118:119], v[136:137], -v[132:133]
	v_add_f64 v[120:121], v[142:143], v[138:139]
	v_add_f64 v[132:133], v[132:133], v[136:137]
	v_add_f64 v[134:135], v[138:139], -v[142:143]
	v_add_f64 v[136:137], v[140:141], -v[152:153]
	v_add_f64 v[138:139], v[150:151], v[154:155]
	v_add_f64 v[140:141], v[144:145], -v[148:149]
	v_add_f64 v[142:143], v[146:147], v[122:123]
	ds_write_b128 v126, v[102:105]
	ds_write_b128 v126, v[106:109] offset:560
	ds_write_b128 v126, v[114:117] offset:1120
	;; [unrolled: 1-line block ×6, first 2 shown]
	s_waitcnt lgkmcnt(0)
	s_barrier
	global_load_dwordx4 v[96:99], v[96:97], off offset:3920
	s_nop 0
	global_load_dwordx4 v[102:105], v100, s[4:5] offset:560
	global_load_dwordx4 v[106:109], v100, s[4:5] offset:1120
	global_load_dwordx4 v[114:117], v100, s[4:5] offset:1680
	global_load_dwordx4 v[118:121], v100, s[4:5] offset:2240
	global_load_dwordx4 v[132:135], v100, s[4:5] offset:2800
	global_load_dwordx4 v[136:139], v100, s[4:5] offset:3360
	ds_read_b128 v[140:143], v126
	ds_read_b128 v[144:147], v126 offset:560
	s_mov_b32 s13, 0x3fe11646
	s_mov_b32 s25, 0xbfdc38aa
	s_waitcnt vmcnt(5) lgkmcnt(0)
	v_mul_f64 v[122:123], v[146:147], v[104:105]
	v_mul_f64 v[110:111], v[142:143], v[98:99]
	v_mul_f64 v[100:101], v[140:141], v[98:99]
	v_fma_f64 v[98:99], v[140:141], v[96:97], -v[110:111]
	v_fmac_f64_e32 v[100:101], v[142:143], v[96:97]
	ds_read_b128 v[140:143], v126 offset:1120
	ds_write_b128 v126, v[98:101]
	v_mul_f64 v[98:99], v[144:145], v[104:105]
	v_fma_f64 v[96:97], v[144:145], v[102:103], -v[122:123]
	v_fmac_f64_e32 v[98:99], v[146:147], v[102:103]
	ds_write_b128 v126, v[96:99] offset:560
	ds_read_b128 v[96:99], v126 offset:1680
	s_waitcnt vmcnt(4) lgkmcnt(3)
	v_mul_f64 v[100:101], v[142:143], v[108:109]
	v_mul_f64 v[102:103], v[140:141], v[108:109]
	v_fma_f64 v[100:101], v[140:141], v[106:107], -v[100:101]
	v_fmac_f64_e32 v[102:103], v[142:143], v[106:107]
	ds_read_b128 v[104:107], v126 offset:2240
	ds_write_b128 v126, v[100:103] offset:1120
	s_waitcnt vmcnt(3) lgkmcnt(2)
	v_mul_f64 v[100:101], v[98:99], v[116:117]
	v_mul_f64 v[102:103], v[96:97], v[116:117]
	v_fma_f64 v[100:101], v[96:97], v[114:115], -v[100:101]
	v_fmac_f64_e32 v[102:103], v[98:99], v[114:115]
	ds_read_b128 v[96:99], v126 offset:2800
	ds_write_b128 v126, v[100:103] offset:1680
	s_waitcnt vmcnt(2) lgkmcnt(3)
	v_mul_f64 v[100:101], v[106:107], v[120:121]
	v_mul_f64 v[102:103], v[104:105], v[120:121]
	v_fma_f64 v[100:101], v[104:105], v[118:119], -v[100:101]
	v_fmac_f64_e32 v[102:103], v[106:107], v[118:119]
	ds_write_b128 v126, v[100:103] offset:2240
	ds_read_b128 v[100:103], v126 offset:3360
	s_waitcnt vmcnt(1) lgkmcnt(3)
	v_mul_f64 v[104:105], v[98:99], v[134:135]
	v_mul_f64 v[106:107], v[96:97], v[134:135]
	v_fma_f64 v[104:105], v[96:97], v[132:133], -v[104:105]
	v_fmac_f64_e32 v[106:107], v[98:99], v[132:133]
	s_waitcnt vmcnt(0) lgkmcnt(0)
	v_mul_f64 v[96:97], v[102:103], v[138:139]
	v_mul_f64 v[98:99], v[100:101], v[138:139]
	v_fma_f64 v[96:97], v[100:101], v[136:137], -v[96:97]
	v_fmac_f64_e32 v[98:99], v[102:103], v[136:137]
	ds_write_b128 v126, v[104:107] offset:2800
	ds_write_b128 v126, v[96:99] offset:3360
	s_waitcnt lgkmcnt(0)
	s_barrier
	ds_read_b128 v[96:99], v126
	ds_read_b128 v[100:103], v126 offset:560
	ds_read_b128 v[104:107], v126 offset:3360
	;; [unrolled: 1-line block ×6, first 2 shown]
	s_waitcnt lgkmcnt(4)
	v_add_f64 v[122:123], v[100:101], v[104:105]
	v_add_f64 v[100:101], v[100:101], -v[104:105]
	v_add_f64 v[136:137], v[102:103], v[106:107]
	v_add_f64 v[102:103], v[102:103], -v[106:107]
	s_waitcnt lgkmcnt(0)
	v_add_f64 v[104:105], v[108:109], v[132:133]
	v_add_f64 v[106:107], v[110:111], v[134:135]
	v_add_f64 v[108:109], v[108:109], -v[132:133]
	v_add_f64 v[132:133], v[114:115], v[118:119]
	v_add_f64 v[114:115], v[118:119], -v[114:115]
	;; [unrolled: 2-line block ×5, first 2 shown]
	v_add_f64 v[142:143], v[132:133], -v[104:105]
	v_add_f64 v[104:105], v[114:115], v[108:109]
	v_add_f64 v[118:119], v[132:133], v[118:119]
	v_add_f64 v[140:141], v[106:107], -v[136:137]
	v_add_f64 v[144:145], v[134:135], -v[106:107]
	v_add_f64 v[106:107], v[116:117], v[110:111]
	v_add_f64 v[146:147], v[114:115], -v[108:109]
	v_add_f64 v[114:115], v[100:101], -v[114:115]
	v_add_f64 v[108:109], v[108:109], -v[100:101]
	v_add_f64 v[120:121], v[134:135], v[120:121]
	v_add_f64 v[100:101], v[104:105], v[100:101]
	;; [unrolled: 1-line block ×3, first 2 shown]
	v_add_f64 v[122:123], v[122:123], -v[132:133]
	v_add_f64 v[136:137], v[136:137], -v[134:135]
	;; [unrolled: 1-line block ×5, first 2 shown]
	v_add_f64 v[102:103], v[106:107], v[102:103]
	v_add_f64 v[106:107], v[98:99], v[120:121]
	v_mov_b64_e32 v[150:151], v[104:105]
	v_mul_f64 v[96:97], v[122:123], s[10:11]
	v_mul_f64 v[98:99], v[136:137], s[10:11]
	;; [unrolled: 1-line block ×8, first 2 shown]
	v_fmac_f64_e32 v[150:151], s[16:17], v[118:119]
	v_mov_b64_e32 v[118:119], v[106:107]
	v_fmac_f64_e32 v[118:119], s[16:17], v[120:121]
	v_fma_f64 v[120:121], s[6:7], v[142:143], v[96:97]
	v_fma_f64 v[122:123], v[138:139], s[18:19], -v[122:123]
	v_fma_f64 v[132:133], v[140:141], s[18:19], -v[132:133]
	;; [unrolled: 1-line block ×4, first 2 shown]
	v_fmac_f64_e32 v[98:99], s[6:7], v[144:145]
	v_fma_f64 v[140:141], s[26:27], v[114:115], v[134:135]
	v_fma_f64 v[134:135], v[108:109], s[14:15], -v[134:135]
	v_fma_f64 v[142:143], v[110:111], s[14:15], -v[136:137]
	v_fmac_f64_e32 v[136:137], s[26:27], v[116:117]
	v_fmac_f64_e32 v[146:147], s[20:21], v[114:115]
	;; [unrolled: 1-line block ×3, first 2 shown]
	v_add_f64 v[144:145], v[120:121], v[150:151]
	v_add_f64 v[152:153], v[98:99], v[118:119]
	;; [unrolled: 1-line block ×6, first 2 shown]
	v_fmac_f64_e32 v[140:141], s[24:25], v[100:101]
	v_fmac_f64_e32 v[136:137], s[24:25], v[102:103]
	;; [unrolled: 1-line block ×6, first 2 shown]
	v_add_f64 v[108:109], v[144:145], v[136:137]
	v_add_f64 v[110:111], v[152:153], -v[140:141]
	v_add_f64 v[114:115], v[96:97], v[148:149]
	v_add_f64 v[116:117], v[138:139], -v[146:147]
	v_add_f64 v[118:119], v[98:99], -v[142:143]
	v_add_f64 v[120:121], v[134:135], v[122:123]
	v_add_f64 v[132:133], v[98:99], v[142:143]
	v_add_f64 v[134:135], v[122:123], -v[134:135]
	v_add_f64 v[96:97], v[96:97], -v[148:149]
	v_add_f64 v[98:99], v[146:147], v[138:139]
	v_add_f64 v[100:101], v[144:145], -v[136:137]
	v_add_f64 v[102:103], v[140:141], v[152:153]
	s_barrier
	ds_write_b128 v112, v[104:107]
	ds_write_b128 v112, v[108:111] offset:16
	ds_write_b128 v112, v[114:117] offset:32
	;; [unrolled: 1-line block ×6, first 2 shown]
	s_waitcnt lgkmcnt(0)
	s_barrier
	ds_read_b128 v[104:107], v126
	ds_read_b128 v[120:123], v126 offset:784
	ds_read_b128 v[116:119], v126 offset:1568
	;; [unrolled: 1-line block ×4, first 2 shown]
	s_and_saveexec_b64 s[4:5], vcc
	s_cbranch_execz .LBB0_7
; %bb.6:
	ds_read_b128 v[96:99], v126 offset:560
	ds_read_b128 v[100:103], v126 offset:1344
	;; [unrolled: 1-line block ×5, first 2 shown]
.LBB0_7:
	s_or_b64 exec, exec, s[4:5]
	s_waitcnt lgkmcnt(3)
	v_mul_f64 v[132:133], v[58:59], v[122:123]
	v_mul_f64 v[58:59], v[58:59], v[120:121]
	v_fmac_f64_e32 v[132:133], v[56:57], v[120:121]
	v_fma_f64 v[120:121], v[56:57], v[122:123], -v[58:59]
	s_waitcnt lgkmcnt(2)
	v_mul_f64 v[58:59], v[50:51], v[118:119]
	v_mul_f64 v[50:51], v[50:51], v[116:117]
	v_fmac_f64_e32 v[58:59], v[48:49], v[116:117]
	v_fma_f64 v[116:117], v[48:49], v[118:119], -v[50:51]
	s_waitcnt lgkmcnt(1)
	v_mul_f64 v[118:119], v[54:55], v[114:115]
	v_fmac_f64_e32 v[118:119], v[52:53], v[112:113]
	v_mul_f64 v[48:49], v[54:55], v[112:113]
	s_waitcnt lgkmcnt(0)
	v_mul_f64 v[54:55], v[46:47], v[110:111]
	v_mul_f64 v[46:47], v[46:47], v[108:109]
	v_fmac_f64_e32 v[54:55], v[44:45], v[108:109]
	v_fma_f64 v[108:109], v[44:45], v[110:111], -v[46:47]
	v_add_f64 v[46:47], v[58:59], v[118:119]
	s_mov_b32 s4, 0x134454ff
	v_fma_f64 v[112:113], v[52:53], v[114:115], -v[48:49]
	v_fma_f64 v[48:49], -0.5, v[46:47], v[104:105]
	v_add_f64 v[46:47], v[120:121], -v[108:109]
	s_mov_b32 s5, 0xbfee6f0e
	s_mov_b32 s6, 0x4755a5e
	s_mov_b32 s13, 0x3fee6f0e
	s_mov_b32 s12, s4
	v_fma_f64 v[52:53], s[4:5], v[46:47], v[48:49]
	v_add_f64 v[50:51], v[116:117], -v[112:113]
	s_mov_b32 s7, 0xbfe2cf23
	v_add_f64 v[56:57], v[132:133], -v[58:59]
	v_add_f64 v[110:111], v[54:55], -v[118:119]
	s_mov_b32 s10, 0x372fe950
	v_fmac_f64_e32 v[48:49], s[12:13], v[46:47]
	s_mov_b32 s15, 0x3fe2cf23
	s_mov_b32 s14, s6
	v_fmac_f64_e32 v[52:53], s[6:7], v[50:51]
	v_add_f64 v[56:57], v[56:57], v[110:111]
	s_mov_b32 s11, 0x3fd3c6ef
	v_fmac_f64_e32 v[48:49], s[14:15], v[50:51]
	v_fmac_f64_e32 v[52:53], s[10:11], v[56:57]
	;; [unrolled: 1-line block ×3, first 2 shown]
	v_add_f64 v[56:57], v[132:133], v[54:55]
	v_add_f64 v[44:45], v[104:105], v[132:133]
	v_fmac_f64_e32 v[104:105], -0.5, v[56:57]
	v_fma_f64 v[56:57], s[12:13], v[50:51], v[104:105]
	v_add_f64 v[110:111], v[58:59], -v[132:133]
	v_add_f64 v[114:115], v[118:119], -v[54:55]
	v_fmac_f64_e32 v[104:105], s[4:5], v[50:51]
	v_add_f64 v[44:45], v[44:45], v[58:59]
	v_fmac_f64_e32 v[56:57], s[6:7], v[46:47]
	v_add_f64 v[110:111], v[110:111], v[114:115]
	;; [unrolled: 2-line block ×3, first 2 shown]
	v_add_f64 v[44:45], v[44:45], v[118:119]
	v_fmac_f64_e32 v[56:57], s[10:11], v[110:111]
	v_fmac_f64_e32 v[104:105], s[10:11], v[110:111]
	v_fma_f64 v[50:51], -0.5, v[50:51], v[106:107]
	v_add_f64 v[110:111], v[132:133], -v[54:55]
	v_add_f64 v[44:45], v[44:45], v[54:55]
	v_fma_f64 v[54:55], s[12:13], v[110:111], v[50:51]
	v_add_f64 v[114:115], v[58:59], -v[118:119]
	v_add_f64 v[58:59], v[120:121], -v[116:117]
	;; [unrolled: 1-line block ×3, first 2 shown]
	v_fmac_f64_e32 v[50:51], s[4:5], v[110:111]
	v_add_f64 v[46:47], v[106:107], v[120:121]
	v_fmac_f64_e32 v[54:55], s[14:15], v[114:115]
	v_add_f64 v[58:59], v[58:59], v[118:119]
	;; [unrolled: 2-line block ×3, first 2 shown]
	v_fmac_f64_e32 v[54:55], s[10:11], v[58:59]
	v_fmac_f64_e32 v[50:51], s[10:11], v[58:59]
	v_add_f64 v[58:59], v[120:121], v[108:109]
	v_add_f64 v[46:47], v[46:47], v[112:113]
	v_fmac_f64_e32 v[106:107], -0.5, v[58:59]
	v_add_f64 v[46:47], v[46:47], v[108:109]
	v_fma_f64 v[58:59], s[4:5], v[114:115], v[106:107]
	v_add_f64 v[116:117], v[116:117], -v[120:121]
	v_add_f64 v[108:109], v[112:113], -v[108:109]
	v_fmac_f64_e32 v[106:107], s[12:13], v[114:115]
	v_fmac_f64_e32 v[58:59], s[14:15], v[110:111]
	v_add_f64 v[108:109], v[116:117], v[108:109]
	v_fmac_f64_e32 v[106:107], s[6:7], v[110:111]
	v_fmac_f64_e32 v[58:59], s[10:11], v[108:109]
	;; [unrolled: 1-line block ×3, first 2 shown]
	s_barrier
	ds_write_b128 v130, v[44:47]
	ds_write_b128 v130, v[52:55] offset:112
	ds_write_b128 v130, v[56:59] offset:224
	;; [unrolled: 1-line block ×4, first 2 shown]
	s_and_saveexec_b64 s[16:17], vcc
	s_cbranch_execz .LBB0_9
; %bb.8:
	v_mul_f64 v[44:45], v[42:43], v[88:89]
	v_mul_f64 v[48:49], v[38:39], v[92:93]
	v_fma_f64 v[46:47], v[40:41], v[90:91], -v[44:45]
	v_mul_f64 v[44:45], v[34:35], v[100:101]
	v_fma_f64 v[52:53], v[36:37], v[94:95], -v[48:49]
	v_mul_f64 v[48:49], v[30:31], v[80:81]
	v_mul_f64 v[56:57], v[42:43], v[90:91]
	v_fma_f64 v[50:51], v[32:33], v[102:103], -v[44:45]
	v_fma_f64 v[54:55], v[28:29], v[82:83], -v[48:49]
	v_fmac_f64_e32 v[56:57], v[40:41], v[88:89]
	v_mul_f64 v[58:59], v[38:39], v[94:95]
	v_mul_f64 v[88:89], v[34:35], v[102:103]
	v_fmac_f64_e32 v[58:59], v[36:37], v[92:93]
	v_add_f64 v[36:37], v[50:51], v[54:55]
	v_fmac_f64_e32 v[88:89], v[32:33], v[100:101]
	v_mul_f64 v[32:33], v[30:31], v[82:83]
	v_add_f64 v[38:39], v[56:57], -v[58:59]
	v_fma_f64 v[36:37], -0.5, v[36:37], v[98:99]
	v_fmac_f64_e32 v[32:33], v[28:29], v[80:81]
	v_add_f64 v[30:31], v[50:51], -v[46:47]
	v_add_f64 v[34:35], v[54:55], -v[52:53]
	;; [unrolled: 1-line block ×4, first 2 shown]
	v_fma_f64 v[40:41], s[12:13], v[38:39], v[36:37]
	v_add_f64 v[28:29], v[88:89], -v[32:33]
	v_fmac_f64_e32 v[36:37], s[4:5], v[38:39]
	v_add_f64 v[34:35], v[30:31], v[34:35]
	v_add_f64 v[30:31], v[46:47], v[52:53]
	;; [unrolled: 1-line block ×3, first 2 shown]
	v_fmac_f64_e32 v[40:41], s[6:7], v[28:29]
	v_fmac_f64_e32 v[36:37], s[14:15], v[28:29]
	v_fma_f64 v[30:31], -0.5, v[30:31], v[98:99]
	v_fmac_f64_e32 v[40:41], s[10:11], v[44:45]
	v_fmac_f64_e32 v[36:37], s[10:11], v[44:45]
	v_fma_f64 v[44:45], s[4:5], v[28:29], v[30:31]
	v_fmac_f64_e32 v[30:31], s[12:13], v[28:29]
	v_add_f64 v[28:29], v[98:99], v[50:51]
	v_add_f64 v[28:29], v[28:29], v[46:47]
	v_fmac_f64_e32 v[44:45], s[6:7], v[38:39]
	v_fmac_f64_e32 v[30:31], s[14:15], v[38:39]
	v_add_f64 v[28:29], v[28:29], v[52:53]
	v_fmac_f64_e32 v[44:45], s[10:11], v[34:35]
	v_fmac_f64_e32 v[30:31], s[10:11], v[34:35]
	v_add_f64 v[48:49], v[28:29], v[54:55]
	v_add_f64 v[28:29], v[56:57], -v[88:89]
	v_add_f64 v[34:35], v[58:59], -v[32:33]
	v_add_f64 v[28:29], v[28:29], v[34:35]
	v_add_f64 v[34:35], v[88:89], v[32:33]
	v_fma_f64 v[34:35], -0.5, v[34:35], v[96:97]
	v_add_f64 v[46:47], v[46:47], -v[52:53]
	v_add_f64 v[50:51], v[50:51], -v[54:55]
	v_fma_f64 v[38:39], s[4:5], v[46:47], v[34:35]
	v_fmac_f64_e32 v[34:35], s[12:13], v[46:47]
	v_fmac_f64_e32 v[38:39], s[14:15], v[50:51]
	;; [unrolled: 1-line block ×5, first 2 shown]
	v_add_f64 v[28:29], v[88:89], -v[56:57]
	v_add_f64 v[42:43], v[32:33], -v[58:59]
	v_add_f64 v[52:53], v[28:29], v[42:43]
	v_add_f64 v[28:29], v[56:57], v[58:59]
	v_fma_f64 v[28:29], -0.5, v[28:29], v[96:97]
	v_fma_f64 v[42:43], s[12:13], v[50:51], v[28:29]
	v_fmac_f64_e32 v[28:29], s[4:5], v[50:51]
	v_fmac_f64_e32 v[42:43], s[14:15], v[46:47]
	;; [unrolled: 1-line block ×3, first 2 shown]
	v_add_f64 v[46:47], v[96:97], v[88:89]
	v_add_f64 v[46:47], v[46:47], v[56:57]
	;; [unrolled: 1-line block ×4, first 2 shown]
	v_mul_u32_u24_e32 v32, 35, v128
	v_add_u32_sdwa v32, v32, v129 dst_sel:DWORD dst_unused:UNUSED_PAD src0_sel:DWORD src1_sel:BYTE_0
	v_lshl_add_u32 v32, v32, 4, v127
	v_fmac_f64_e32 v[42:43], s[10:11], v[52:53]
	v_fmac_f64_e32 v[28:29], s[10:11], v[52:53]
	ds_write_b128 v32, v[46:49]
	ds_write_b128 v32, v[28:31] offset:112
	ds_write_b128 v32, v[34:37] offset:224
	;; [unrolled: 1-line block ×4, first 2 shown]
.LBB0_9:
	s_or_b64 exec, exec, s[16:17]
	s_waitcnt lgkmcnt(0)
	s_barrier
	ds_read_b128 v[34:37], v126
	ds_read_b128 v[38:41], v126 offset:560
	ds_read_b128 v[42:45], v126 offset:1120
	;; [unrolled: 1-line block ×6, first 2 shown]
	s_waitcnt lgkmcnt(5)
	v_mul_f64 v[58:59], v[74:75], v[40:41]
	v_fmac_f64_e32 v[58:59], v[72:73], v[38:39]
	v_mul_f64 v[38:39], v[74:75], v[38:39]
	v_fma_f64 v[38:39], v[72:73], v[40:41], -v[38:39]
	s_waitcnt lgkmcnt(4)
	v_mul_f64 v[40:41], v[70:71], v[44:45]
	v_fmac_f64_e32 v[40:41], v[68:69], v[42:43]
	v_mul_f64 v[42:43], v[70:71], v[42:43]
	v_fma_f64 v[42:43], v[68:69], v[44:45], -v[42:43]
	;; [unrolled: 5-line block ×6, first 2 shown]
	v_add_f64 v[62:63], v[58:59], v[56:57]
	v_add_f64 v[56:57], v[58:59], -v[56:57]
	v_add_f64 v[58:59], v[40:41], v[52:53]
	v_mad_u64_u32 v[30:31], s[4:5], s2, v124, 0
	v_add_f64 v[64:65], v[38:39], v[60:61]
	v_add_f64 v[38:39], v[38:39], -v[60:61]
	v_add_f64 v[60:61], v[42:43], v[54:55]
	v_add_f64 v[40:41], v[40:41], -v[52:53]
	;; [unrolled: 2-line block ×5, first 2 shown]
	v_add_f64 v[50:51], v[60:61], v[64:65]
	v_add_f64 v[48:49], v[52:53], v[48:49]
	s_mov_b32 s4, 0x37e14327
	v_mov_b32_e32 v28, s8
	v_mov_b32_e32 v29, s9
	v_add_f64 v[66:67], v[58:59], -v[62:63]
	v_add_f64 v[68:69], v[60:61], -v[64:65]
	;; [unrolled: 1-line block ×4, first 2 shown]
	v_add_f64 v[70:71], v[44:45], v[40:41]
	v_add_f64 v[50:51], v[54:55], v[50:51]
	;; [unrolled: 1-line block ×3, first 2 shown]
	s_mov_b32 s5, 0x3fe948f6
	s_mov_b32 s8, 0xaaaaaaaa
	v_add_f64 v[58:59], v[52:53], -v[58:59]
	v_add_f64 v[60:61], v[54:55], -v[60:61]
	;; [unrolled: 1-line block ×5, first 2 shown]
	v_add_f64 v[52:53], v[70:71], v[56:57]
	v_add_f64 v[36:37], v[36:37], v[50:51]
	v_mul_f64 v[54:55], v[62:63], s[4:5]
	v_mul_f64 v[56:57], v[64:65], s[4:5]
	s_mov_b32 s4, 0x36b3c0b5
	s_mov_b32 s9, 0xbff2aaaa
	v_mov_b64_e32 v[78:79], v[34:35]
	s_mov_b32 s5, 0x3fac98ee
	s_mov_b32 s6, 0xe976ee23
	v_fmac_f64_e32 v[78:79], s[8:9], v[48:49]
	v_mov_b64_e32 v[48:49], v[36:37]
	v_add_f64 v[72:73], v[46:47], v[42:43]
	v_add_f64 v[76:77], v[46:47], -v[42:43]
	v_mul_f64 v[62:63], v[58:59], s[4:5]
	v_mul_f64 v[64:65], v[60:61], s[4:5]
	s_mov_b32 s7, 0x3fe11646
	v_fmac_f64_e32 v[48:49], s[8:9], v[50:51]
	s_mov_b32 s9, 0x3fe77f67
	s_mov_b32 s8, 0x5476071b
	v_add_f64 v[46:47], v[38:39], -v[46:47]
	v_add_f64 v[42:43], v[42:43], -v[38:39]
	v_add_f64 v[38:39], v[72:73], v[38:39]
	v_mul_f64 v[70:71], v[74:75], s[6:7]
	v_mul_f64 v[72:73], v[76:77], s[6:7]
	s_mov_b32 s6, 0x429ad128
	v_fma_f64 v[50:51], s[4:5], v[58:59], v[54:55]
	v_fma_f64 v[58:59], v[66:67], s[8:9], -v[62:63]
	v_fma_f64 v[62:63], v[68:69], s[8:9], -v[64:65]
	s_mov_b32 s9, 0xbfe77f67
	s_mov_b32 s7, 0xbfebfeb5
	v_fma_f64 v[64:65], v[68:69], s[8:9], -v[56:57]
	v_fmac_f64_e32 v[56:57], s[4:5], v[60:61]
	s_mov_b32 s5, 0xbfd5d0dc
	s_mov_b32 s4, 0xb247c609
	v_mul_f64 v[74:75], v[40:41], s[6:7]
	v_mul_f64 v[76:77], v[42:43], s[6:7]
	v_fma_f64 v[60:61], s[4:5], v[44:45], v[70:71]
	v_fma_f64 v[68:69], v[42:43], s[6:7], -v[72:73]
	v_fmac_f64_e32 v[72:73], s[4:5], v[46:47]
	s_mov_b32 s5, 0x3fd5d0dc
	v_fma_f64 v[54:55], v[66:67], s[8:9], -v[54:55]
	v_fma_f64 v[66:67], v[40:41], s[6:7], -v[70:71]
	;; [unrolled: 1-line block ×4, first 2 shown]
	s_mov_b32 s4, 0x37c3f68c
	s_mov_b32 s5, 0xbfdc38aa
	v_add_f64 v[76:77], v[50:51], v[78:79]
	v_add_f64 v[80:81], v[56:57], v[48:49]
	;; [unrolled: 1-line block ×6, first 2 shown]
	v_fmac_f64_e32 v[60:61], s[4:5], v[52:53]
	v_fmac_f64_e32 v[72:73], s[4:5], v[38:39]
	;; [unrolled: 1-line block ×6, first 2 shown]
	v_add_f64 v[38:39], v[72:73], v[76:77]
	v_add_f64 v[40:41], v[80:81], -v[60:61]
	v_add_f64 v[42:43], v[74:75], v[54:55]
	v_add_f64 v[44:45], v[58:59], -v[70:71]
	v_add_f64 v[46:47], v[50:51], -v[68:69]
	v_add_f64 v[48:49], v[66:67], v[56:57]
	v_add_f64 v[50:51], v[68:69], v[50:51]
	v_add_f64 v[52:53], v[56:57], -v[66:67]
	v_add_f64 v[54:55], v[54:55], -v[74:75]
	v_add_f64 v[56:57], v[70:71], v[58:59]
	v_add_f64 v[58:59], v[76:77], -v[72:73]
	v_add_f64 v[60:61], v[60:61], v[80:81]
	ds_write_b128 v126, v[34:37]
	ds_write_b128 v126, v[38:41] offset:560
	ds_write_b128 v126, v[42:45] offset:1120
	;; [unrolled: 1-line block ×6, first 2 shown]
	s_waitcnt lgkmcnt(0)
	s_barrier
	ds_read_b128 v[34:37], v126
	ds_read_b128 v[38:41], v126 offset:560
	v_mov_b32_e32 v32, v31
	v_mad_u64_u32 v[32:33], s[2:3], s3, v124, v[32:33]
	v_mov_b32_e32 v31, v32
	s_waitcnt lgkmcnt(1)
	v_mul_f64 v[32:33], v[26:27], v[36:37]
	s_mov_b32 s2, 0xec259dc8
	v_mul_f64 v[26:27], v[26:27], v[34:35]
	v_fmac_f64_e32 v[32:33], v[24:25], v[34:35]
	s_mov_b32 s3, 0x3f70b7e6
	v_fma_f64 v[24:25], v[24:25], v[36:37], -v[26:27]
	v_mul_f64 v[34:35], v[24:25], s[2:3]
	v_mad_u64_u32 v[24:25], s[4:5], s0, v125, 0
	v_mov_b32_e32 v26, v25
	v_mad_u64_u32 v[26:27], s[4:5], s1, v125, v[26:27]
	v_mov_b32_e32 v25, v26
	v_lshl_add_u64 v[26:27], v[30:31], 4, v[28:29]
	v_mul_f64 v[32:33], v[32:33], s[2:3]
	v_lshl_add_u64 v[28:29], v[24:25], 4, v[26:27]
	s_waitcnt lgkmcnt(0)
	v_mul_f64 v[24:25], v[18:19], v[40:41]
	v_mul_f64 v[18:19], v[18:19], v[38:39]
	global_store_dwordx4 v[28:29], v[32:35], off
	v_fmac_f64_e32 v[24:25], v[16:17], v[38:39]
	v_fma_f64 v[16:17], v[16:17], v[40:41], -v[18:19]
	v_mov_b32_e32 v34, 0x230
	v_mul_f64 v[26:27], v[16:17], s[2:3]
	v_mad_u64_u32 v[32:33], s[4:5], s0, v34, v[28:29]
	ds_read_b128 v[16:19], v126 offset:1120
	s_mul_i32 s6, s1, 0x230
	v_mul_f64 v[24:25], v[24:25], s[2:3]
	v_add_u32_e32 v33, s6, v33
	global_store_dwordx4 v[32:33], v[24:27], off
	ds_read_b128 v[24:27], v126 offset:1680
	s_waitcnt lgkmcnt(1)
	v_mul_f64 v[28:29], v[2:3], v[18:19]
	v_mul_f64 v[2:3], v[2:3], v[16:17]
	v_fmac_f64_e32 v[28:29], v[0:1], v[16:17]
	v_fma_f64 v[0:1], v[0:1], v[18:19], -v[2:3]
	v_mad_u64_u32 v[32:33], s[4:5], s0, v34, v[32:33]
	v_mul_f64 v[30:31], v[0:1], s[2:3]
	v_add_u32_e32 v33, s6, v33
	s_waitcnt lgkmcnt(0)
	v_mul_f64 v[0:1], v[22:23], v[26:27]
	v_mul_f64 v[2:3], v[22:23], v[24:25]
	v_fmac_f64_e32 v[0:1], v[20:21], v[24:25]
	v_fma_f64 v[2:3], v[20:21], v[26:27], -v[2:3]
	ds_read_b128 v[16:19], v126 offset:2240
	v_mad_u64_u32 v[24:25], s[4:5], s0, v34, v[32:33]
	v_mul_f64 v[28:29], v[28:29], s[2:3]
	v_mul_f64 v[0:1], v[0:1], s[2:3]
	;; [unrolled: 1-line block ×3, first 2 shown]
	v_add_u32_e32 v25, s6, v25
	global_store_dwordx4 v[32:33], v[28:31], off
	global_store_dwordx4 v[24:25], v[0:3], off
	ds_read_b128 v[0:3], v126 offset:2800
	s_waitcnt lgkmcnt(1)
	v_mul_f64 v[20:21], v[6:7], v[18:19]
	v_mul_f64 v[6:7], v[6:7], v[16:17]
	v_fmac_f64_e32 v[20:21], v[4:5], v[16:17]
	v_fma_f64 v[4:5], v[4:5], v[18:19], -v[6:7]
	v_mul_f64 v[22:23], v[4:5], s[2:3]
	s_waitcnt lgkmcnt(0)
	v_mul_f64 v[4:5], v[10:11], v[2:3]
	v_fmac_f64_e32 v[4:5], v[8:9], v[0:1]
	v_mul_f64 v[0:1], v[10:11], v[0:1]
	v_fma_f64 v[0:1], v[8:9], v[2:3], -v[0:1]
	v_mul_f64 v[6:7], v[0:1], s[2:3]
	ds_read_b128 v[0:3], v126 offset:3360
	v_mad_u64_u32 v[16:17], s[4:5], s0, v34, v[24:25]
	v_add_u32_e32 v17, s6, v17
	v_mad_u64_u32 v[8:9], s[4:5], s0, v34, v[16:17]
	v_mul_f64 v[20:21], v[20:21], s[2:3]
	v_mul_f64 v[4:5], v[4:5], s[2:3]
	v_add_u32_e32 v9, s6, v9
	global_store_dwordx4 v[16:17], v[20:23], off
	global_store_dwordx4 v[8:9], v[4:7], off
	s_waitcnt lgkmcnt(0)
	s_nop 0
	v_mul_f64 v[4:5], v[14:15], v[2:3]
	v_fmac_f64_e32 v[4:5], v[12:13], v[0:1]
	v_mul_f64 v[0:1], v[14:15], v[0:1]
	v_fma_f64 v[0:1], v[12:13], v[2:3], -v[0:1]
	v_mul_f64 v[6:7], v[0:1], s[2:3]
	v_mad_u64_u32 v[0:1], s[0:1], s0, v34, v[8:9]
	v_mul_f64 v[4:5], v[4:5], s[2:3]
	v_add_u32_e32 v1, s6, v1
	global_store_dwordx4 v[0:1], v[4:7], off
.LBB0_10:
	s_endpgm
	.section	.rodata,"a",@progbits
	.p2align	6, 0x0
	.amdhsa_kernel bluestein_single_fwd_len245_dim1_dp_op_CI_CI
		.amdhsa_group_segment_fixed_size 27440
		.amdhsa_private_segment_fixed_size 0
		.amdhsa_kernarg_size 104
		.amdhsa_user_sgpr_count 2
		.amdhsa_user_sgpr_dispatch_ptr 0
		.amdhsa_user_sgpr_queue_ptr 0
		.amdhsa_user_sgpr_kernarg_segment_ptr 1
		.amdhsa_user_sgpr_dispatch_id 0
		.amdhsa_user_sgpr_kernarg_preload_length 0
		.amdhsa_user_sgpr_kernarg_preload_offset 0
		.amdhsa_user_sgpr_private_segment_size 0
		.amdhsa_uses_dynamic_stack 0
		.amdhsa_enable_private_segment 0
		.amdhsa_system_sgpr_workgroup_id_x 1
		.amdhsa_system_sgpr_workgroup_id_y 0
		.amdhsa_system_sgpr_workgroup_id_z 0
		.amdhsa_system_sgpr_workgroup_info 0
		.amdhsa_system_vgpr_workitem_id 0
		.amdhsa_next_free_vgpr 162
		.amdhsa_next_free_sgpr 30
		.amdhsa_accum_offset 164
		.amdhsa_reserve_vcc 1
		.amdhsa_float_round_mode_32 0
		.amdhsa_float_round_mode_16_64 0
		.amdhsa_float_denorm_mode_32 3
		.amdhsa_float_denorm_mode_16_64 3
		.amdhsa_dx10_clamp 1
		.amdhsa_ieee_mode 1
		.amdhsa_fp16_overflow 0
		.amdhsa_tg_split 0
		.amdhsa_exception_fp_ieee_invalid_op 0
		.amdhsa_exception_fp_denorm_src 0
		.amdhsa_exception_fp_ieee_div_zero 0
		.amdhsa_exception_fp_ieee_overflow 0
		.amdhsa_exception_fp_ieee_underflow 0
		.amdhsa_exception_fp_ieee_inexact 0
		.amdhsa_exception_int_div_zero 0
	.end_amdhsa_kernel
	.text
.Lfunc_end0:
	.size	bluestein_single_fwd_len245_dim1_dp_op_CI_CI, .Lfunc_end0-bluestein_single_fwd_len245_dim1_dp_op_CI_CI
                                        ; -- End function
	.section	.AMDGPU.csdata,"",@progbits
; Kernel info:
; codeLenInByte = 8428
; NumSgprs: 36
; NumVgprs: 162
; NumAgprs: 0
; TotalNumVgprs: 162
; ScratchSize: 0
; MemoryBound: 0
; FloatMode: 240
; IeeeMode: 1
; LDSByteSize: 27440 bytes/workgroup (compile time only)
; SGPRBlocks: 4
; VGPRBlocks: 20
; NumSGPRsForWavesPerEU: 36
; NumVGPRsForWavesPerEU: 162
; AccumOffset: 164
; Occupancy: 3
; WaveLimiterHint : 1
; COMPUTE_PGM_RSRC2:SCRATCH_EN: 0
; COMPUTE_PGM_RSRC2:USER_SGPR: 2
; COMPUTE_PGM_RSRC2:TRAP_HANDLER: 0
; COMPUTE_PGM_RSRC2:TGID_X_EN: 1
; COMPUTE_PGM_RSRC2:TGID_Y_EN: 0
; COMPUTE_PGM_RSRC2:TGID_Z_EN: 0
; COMPUTE_PGM_RSRC2:TIDIG_COMP_CNT: 0
; COMPUTE_PGM_RSRC3_GFX90A:ACCUM_OFFSET: 40
; COMPUTE_PGM_RSRC3_GFX90A:TG_SPLIT: 0
	.text
	.p2alignl 6, 3212836864
	.fill 256, 4, 3212836864
	.type	__hip_cuid_6158b74780014950,@object ; @__hip_cuid_6158b74780014950
	.section	.bss,"aw",@nobits
	.globl	__hip_cuid_6158b74780014950
__hip_cuid_6158b74780014950:
	.byte	0                               ; 0x0
	.size	__hip_cuid_6158b74780014950, 1

	.ident	"AMD clang version 19.0.0git (https://github.com/RadeonOpenCompute/llvm-project roc-6.4.0 25133 c7fe45cf4b819c5991fe208aaa96edf142730f1d)"
	.section	".note.GNU-stack","",@progbits
	.addrsig
	.addrsig_sym __hip_cuid_6158b74780014950
	.amdgpu_metadata
---
amdhsa.kernels:
  - .agpr_count:     0
    .args:
      - .actual_access:  read_only
        .address_space:  global
        .offset:         0
        .size:           8
        .value_kind:     global_buffer
      - .actual_access:  read_only
        .address_space:  global
        .offset:         8
        .size:           8
        .value_kind:     global_buffer
      - .actual_access:  read_only
        .address_space:  global
        .offset:         16
        .size:           8
        .value_kind:     global_buffer
      - .actual_access:  read_only
        .address_space:  global
        .offset:         24
        .size:           8
        .value_kind:     global_buffer
      - .actual_access:  read_only
        .address_space:  global
        .offset:         32
        .size:           8
        .value_kind:     global_buffer
      - .offset:         40
        .size:           8
        .value_kind:     by_value
      - .address_space:  global
        .offset:         48
        .size:           8
        .value_kind:     global_buffer
      - .address_space:  global
        .offset:         56
        .size:           8
        .value_kind:     global_buffer
      - .address_space:  global
        .offset:         64
        .size:           8
        .value_kind:     global_buffer
      - .address_space:  global
        .offset:         72
        .size:           8
        .value_kind:     global_buffer
      - .offset:         80
        .size:           4
        .value_kind:     by_value
      - .address_space:  global
        .offset:         88
        .size:           8
        .value_kind:     global_buffer
      - .address_space:  global
        .offset:         96
        .size:           8
        .value_kind:     global_buffer
    .group_segment_fixed_size: 27440
    .kernarg_segment_align: 8
    .kernarg_segment_size: 104
    .language:       OpenCL C
    .language_version:
      - 2
      - 0
    .max_flat_workgroup_size: 245
    .name:           bluestein_single_fwd_len245_dim1_dp_op_CI_CI
    .private_segment_fixed_size: 0
    .sgpr_count:     36
    .sgpr_spill_count: 0
    .symbol:         bluestein_single_fwd_len245_dim1_dp_op_CI_CI.kd
    .uniform_work_group_size: 1
    .uses_dynamic_stack: false
    .vgpr_count:     162
    .vgpr_spill_count: 0
    .wavefront_size: 64
amdhsa.target:   amdgcn-amd-amdhsa--gfx950
amdhsa.version:
  - 1
  - 2
...

	.end_amdgpu_metadata
